;; amdgpu-corpus repo=zjin-lcf/HeCBench kind=compiled arch=gfx1250 opt=O3
	.amdgcn_target "amdgcn-amd-amdhsa--gfx1250"
	.amdhsa_code_object_version 6
	.text
	.protected	_Z13TaskQueue_gpuPK6task_tPiS2_iii ; -- Begin function _Z13TaskQueue_gpuPK6task_tPiS2_iii
	.globl	_Z13TaskQueue_gpuPK6task_tPiS2_iii
	.p2align	8
	.type	_Z13TaskQueue_gpuPK6task_tPiS2_iii,@function
_Z13TaskQueue_gpuPK6task_tPiS2_iii:     ; @_Z13TaskQueue_gpuPK6task_tPiS2_iii
; %bb.0:
	s_clause 0x2
	s_load_b128 s[4:7], s[0:1], 0x0
	s_load_b64 s[12:13], s[0:1], 0x10
	s_load_b32 s3, s[0:1], 0x34
	v_cmp_eq_u32_e64 s2, 0, v0
	s_and_saveexec_b32 s8, s2
	s_cbranch_execz .LBB0_4
; %bb.1:
	s_mov_b32 s10, exec_lo
	s_mov_b32 s9, exec_lo
	v_mbcnt_lo_u32_b32 v1, s10, 0
                                        ; implicit-def: $vgpr2
	s_delay_alu instid0(VALU_DEP_1)
	v_cmpx_eq_u32_e32 0, v1
	s_cbranch_execz .LBB0_3
; %bb.2:
	s_bcnt1_i32_b32 s10, s10
	s_delay_alu instid0(SALU_CYCLE_1)
	v_dual_mov_b32 v2, 0 :: v_dual_mov_b32 v3, s10
	s_wait_xcnt 0x0
	s_wait_kmcnt 0x0
	global_atomic_add_u32 v2, v2, v3, s[12:13] th:TH_ATOMIC_RETURN scope:SCOPE_DEV
.LBB0_3:
	s_wait_xcnt 0x0
	s_or_b32 exec_lo, exec_lo, s9
	s_wait_loadcnt 0x0
	v_readfirstlane_b32 s9, v2
	s_delay_alu instid0(VALU_DEP_1)
	v_dual_mov_b32 v4, 0 :: v_dual_add_nc_u32 v1, s9, v1
	s_wait_kmcnt 0x0
	global_load_b64 v[2:3], v1, s[4:5] scale_offset
	ds_store_b32 v4, v1
	s_wait_loadcnt 0x0
	ds_store_2addr_b32 v4, v2, v3 offset0:1 offset1:2
.LBB0_4:
	s_or_b32 exec_lo, exec_lo, s8
	v_mov_b32_e32 v1, 0
	s_load_b96 s[8:10], s[0:1], 0x18
	s_wait_dscnt 0x0
	s_barrier_signal -1
	s_barrier_wait -1
	ds_load_b32 v2, v1
	s_wait_dscnt 0x0
	s_wait_kmcnt 0x0
	v_cmp_le_i32_e32 vcc_lo, s10, v2
	s_cbranch_vccnz .LBB0_22
; %bb.5:
	s_and_b32 s0, 0xffff, s3
	s_cmp_lt_i32 s8, 1
	s_mul_i32 s3, s8, s0
	s_cselect_b32 s1, -1, 0
	s_branch .LBB0_8
.LBB0_6:                                ;   in Loop: Header=BB0_8 Depth=1
	s_wait_xcnt 0x0
	s_or_b32 exec_lo, exec_lo, s11
	s_wait_loadcnt 0x0
	v_readfirstlane_b32 s11, v3
	s_delay_alu instid0(VALU_DEP_1)
	v_add_nc_u32_e32 v4, s11, v2
	global_load_b64 v[2:3], v4, s[4:5] scale_offset
	ds_store_b32 v1, v4
	s_wait_loadcnt 0x0
	ds_store_2addr_b32 v1, v2, v3 offset0:1 offset1:2
.LBB0_7:                                ;   in Loop: Header=BB0_8 Depth=1
	s_or_b32 exec_lo, exec_lo, s8
	s_wait_dscnt 0x0
	s_barrier_signal -1
	s_barrier_wait -1
	ds_load_b32 v2, v1
	s_wait_dscnt 0x0
	v_cmp_gt_i32_e32 vcc_lo, s10, v2
	s_cbranch_vccz .LBB0_22
.LBB0_8:                                ; =>This Inner Loop Header: Depth=1
	ds_load_b32 v2, v1 offset:8
	s_mov_b32 s11, -1
	s_wait_dscnt 0x0
	v_cmp_gt_i32_e32 vcc_lo, 2, v2
	v_readfirstlane_b32 s8, v2
	s_cbranch_vccnz .LBB0_12
; %bb.9:                                ;   in Loop: Header=BB0_8 Depth=1
	s_cmp_eq_u32 s8, 2
	s_cbranch_scc0 .LBB0_11
; %bb.10:                               ;   in Loop: Header=BB0_8 Depth=1
	ds_load_b32 v2, v1 offset:4
	s_wait_dscnt 0x0
	v_subrev_nc_u32_e32 v3, s9, v2
	s_delay_alu instid0(VALU_DEP_1)
	v_mad_u32 v3, v3, s0, v0
	global_load_b32 v4, v3, s[6:7] scale_offset
	s_wait_loadcnt 0x0
	v_add3_u32 v2, v2, s0, v4
	global_store_b32 v3, v2, s[6:7] scale_offset
.LBB0_11:                               ;   in Loop: Header=BB0_8 Depth=1
	s_mov_b32 s11, 0
.LBB0_12:                               ;   in Loop: Header=BB0_8 Depth=1
	s_delay_alu instid0(SALU_CYCLE_1)
	s_and_not1_b32 vcc_lo, exec_lo, s11
	s_cbranch_vccnz .LBB0_19
; %bb.13:                               ;   in Loop: Header=BB0_8 Depth=1
	s_cmp_lg_u32 s8, 1
	s_cbranch_scc1 .LBB0_19
; %bb.14:                               ;   in Loop: Header=BB0_8 Depth=1
	ds_load_b32 v4, v1 offset:4
	s_and_not1_b32 vcc_lo, exec_lo, s1
	s_mov_b32 s8, -1
                                        ; implicit-def: $vgpr5
	s_wait_dscnt 0x0
	s_wait_xcnt 0x0
	v_subrev_nc_u32_e32 v2, s9, v4
	s_delay_alu instid0(VALU_DEP_1) | instskip(NEXT) | instid1(VALU_DEP_1)
	v_mad_u32 v2, v2, s0, v0
	v_ashrrev_i32_e32 v3, 31, v2
	s_delay_alu instid0(VALU_DEP_1)
	v_lshl_add_u64 v[2:3], v[2:3], 2, s[6:7]
	s_cbranch_vccnz .LBB0_16
; %bb.15:                               ;   in Loop: Header=BB0_8 Depth=1
	global_load_b32 v5, v[2:3], off
	s_mov_b32 s8, 0
.LBB0_16:                               ;   in Loop: Header=BB0_8 Depth=1
	s_delay_alu instid0(SALU_CYCLE_1)
	s_and_not1_b32 vcc_lo, exec_lo, s8
	s_cbranch_vccnz .LBB0_18
; %bb.17:                               ;   in Loop: Header=BB0_8 Depth=1
	s_wait_loadcnt 0x0
	global_load_b32 v5, v[2:3], off
	s_wait_loadcnt 0x0
	v_add_nc_u32_e32 v5, s3, v5
	global_store_b32 v[2:3], v5, off
.LBB0_18:                               ;   in Loop: Header=BB0_8 Depth=1
	s_wait_loadcnt 0x0
	v_add_nc_u32_e32 v4, v5, v4
	global_store_b32 v[2:3], v4, off
.LBB0_19:                               ;   in Loop: Header=BB0_8 Depth=1
	s_wait_storecnt 0x0
	s_barrier_signal -1
	s_barrier_wait -1
	s_wait_xcnt 0x0
	s_and_saveexec_b32 s8, s2
	s_cbranch_execz .LBB0_7
; %bb.20:                               ;   in Loop: Header=BB0_8 Depth=1
	s_mov_b32 s14, exec_lo
	s_mov_b32 s11, exec_lo
	v_mbcnt_lo_u32_b32 v2, s14, 0
                                        ; implicit-def: $vgpr3
	s_delay_alu instid0(VALU_DEP_1)
	v_cmpx_eq_u32_e32 0, v2
	s_cbranch_execz .LBB0_6
; %bb.21:                               ;   in Loop: Header=BB0_8 Depth=1
	s_bcnt1_i32_b32 s14, s14
	s_delay_alu instid0(SALU_CYCLE_1)
	v_mov_b32_e32 v3, s14
	global_atomic_add_u32 v3, v1, v3, s[12:13] th:TH_ATOMIC_RETURN scope:SCOPE_DEV
	s_branch .LBB0_6
.LBB0_22:
	s_endpgm
	.section	.rodata,"a",@progbits
	.p2align	6, 0x0
	.amdhsa_kernel _Z13TaskQueue_gpuPK6task_tPiS2_iii
		.amdhsa_group_segment_fixed_size 0
		.amdhsa_private_segment_fixed_size 0
		.amdhsa_kernarg_size 296
		.amdhsa_user_sgpr_count 2
		.amdhsa_user_sgpr_dispatch_ptr 0
		.amdhsa_user_sgpr_queue_ptr 0
		.amdhsa_user_sgpr_kernarg_segment_ptr 1
		.amdhsa_user_sgpr_dispatch_id 0
		.amdhsa_user_sgpr_kernarg_preload_length 0
		.amdhsa_user_sgpr_kernarg_preload_offset 0
		.amdhsa_user_sgpr_private_segment_size 0
		.amdhsa_wavefront_size32 1
		.amdhsa_uses_dynamic_stack 0
		.amdhsa_enable_private_segment 0
		.amdhsa_system_sgpr_workgroup_id_x 1
		.amdhsa_system_sgpr_workgroup_id_y 0
		.amdhsa_system_sgpr_workgroup_id_z 0
		.amdhsa_system_sgpr_workgroup_info 0
		.amdhsa_system_vgpr_workitem_id 0
		.amdhsa_next_free_vgpr 6
		.amdhsa_next_free_sgpr 15
		.amdhsa_named_barrier_count 0
		.amdhsa_reserve_vcc 1
		.amdhsa_float_round_mode_32 0
		.amdhsa_float_round_mode_16_64 0
		.amdhsa_float_denorm_mode_32 3
		.amdhsa_float_denorm_mode_16_64 3
		.amdhsa_fp16_overflow 0
		.amdhsa_memory_ordered 1
		.amdhsa_forward_progress 1
		.amdhsa_inst_pref_size 6
		.amdhsa_round_robin_scheduling 0
		.amdhsa_exception_fp_ieee_invalid_op 0
		.amdhsa_exception_fp_denorm_src 0
		.amdhsa_exception_fp_ieee_div_zero 0
		.amdhsa_exception_fp_ieee_overflow 0
		.amdhsa_exception_fp_ieee_underflow 0
		.amdhsa_exception_fp_ieee_inexact 0
		.amdhsa_exception_int_div_zero 0
	.end_amdhsa_kernel
	.text
.Lfunc_end0:
	.size	_Z13TaskQueue_gpuPK6task_tPiS2_iii, .Lfunc_end0-_Z13TaskQueue_gpuPK6task_tPiS2_iii
                                        ; -- End function
	.set _Z13TaskQueue_gpuPK6task_tPiS2_iii.num_vgpr, 6
	.set _Z13TaskQueue_gpuPK6task_tPiS2_iii.num_agpr, 0
	.set _Z13TaskQueue_gpuPK6task_tPiS2_iii.numbered_sgpr, 15
	.set _Z13TaskQueue_gpuPK6task_tPiS2_iii.num_named_barrier, 0
	.set _Z13TaskQueue_gpuPK6task_tPiS2_iii.private_seg_size, 0
	.set _Z13TaskQueue_gpuPK6task_tPiS2_iii.uses_vcc, 1
	.set _Z13TaskQueue_gpuPK6task_tPiS2_iii.uses_flat_scratch, 0
	.set _Z13TaskQueue_gpuPK6task_tPiS2_iii.has_dyn_sized_stack, 0
	.set _Z13TaskQueue_gpuPK6task_tPiS2_iii.has_recursion, 0
	.set _Z13TaskQueue_gpuPK6task_tPiS2_iii.has_indirect_call, 0
	.section	.AMDGPU.csdata,"",@progbits
; Kernel info:
; codeLenInByte = 692
; TotalNumSgprs: 17
; NumVgprs: 6
; ScratchSize: 0
; MemoryBound: 0
; FloatMode: 240
; IeeeMode: 1
; LDSByteSize: 0 bytes/workgroup (compile time only)
; SGPRBlocks: 0
; VGPRBlocks: 0
; NumSGPRsForWavesPerEU: 17
; NumVGPRsForWavesPerEU: 6
; NamedBarCnt: 0
; Occupancy: 16
; WaveLimiterHint : 0
; COMPUTE_PGM_RSRC2:SCRATCH_EN: 0
; COMPUTE_PGM_RSRC2:USER_SGPR: 2
; COMPUTE_PGM_RSRC2:TRAP_HANDLER: 0
; COMPUTE_PGM_RSRC2:TGID_X_EN: 1
; COMPUTE_PGM_RSRC2:TGID_Y_EN: 0
; COMPUTE_PGM_RSRC2:TGID_Z_EN: 0
; COMPUTE_PGM_RSRC2:TIDIG_COMP_CNT: 0
	.text
	.p2alignl 7, 3214868480
	.fill 96, 4, 3214868480
	.section	.AMDGPU.gpr_maximums,"",@progbits
	.set amdgpu.max_num_vgpr, 0
	.set amdgpu.max_num_agpr, 0
	.set amdgpu.max_num_sgpr, 0
	.text
	.type	__hip_cuid_6c354969fa16dd97,@object ; @__hip_cuid_6c354969fa16dd97
	.section	.bss,"aw",@nobits
	.globl	__hip_cuid_6c354969fa16dd97
__hip_cuid_6c354969fa16dd97:
	.byte	0                               ; 0x0
	.size	__hip_cuid_6c354969fa16dd97, 1

	.ident	"AMD clang version 22.0.0git (https://github.com/RadeonOpenCompute/llvm-project roc-7.2.4 26084 f58b06dce1f9c15707c5f808fd002e18c2accf7e)"
	.section	".note.GNU-stack","",@progbits
	.addrsig
	.addrsig_sym __hip_cuid_6c354969fa16dd97
	.amdgpu_metadata
---
amdhsa.kernels:
  - .args:
      - .actual_access:  read_only
        .address_space:  global
        .offset:         0
        .size:           8
        .value_kind:     global_buffer
      - .address_space:  global
        .offset:         8
        .size:           8
        .value_kind:     global_buffer
      - .address_space:  global
        .offset:         16
        .size:           8
        .value_kind:     global_buffer
      - .offset:         24
        .size:           4
        .value_kind:     by_value
      - .offset:         28
        .size:           4
        .value_kind:     by_value
      - .offset:         32
        .size:           4
        .value_kind:     by_value
      - .offset:         40
        .size:           4
        .value_kind:     hidden_block_count_x
      - .offset:         44
        .size:           4
        .value_kind:     hidden_block_count_y
      - .offset:         48
        .size:           4
        .value_kind:     hidden_block_count_z
      - .offset:         52
        .size:           2
        .value_kind:     hidden_group_size_x
      - .offset:         54
        .size:           2
        .value_kind:     hidden_group_size_y
      - .offset:         56
        .size:           2
        .value_kind:     hidden_group_size_z
      - .offset:         58
        .size:           2
        .value_kind:     hidden_remainder_x
      - .offset:         60
        .size:           2
        .value_kind:     hidden_remainder_y
      - .offset:         62
        .size:           2
        .value_kind:     hidden_remainder_z
      - .offset:         80
        .size:           8
        .value_kind:     hidden_global_offset_x
      - .offset:         88
        .size:           8
        .value_kind:     hidden_global_offset_y
      - .offset:         96
        .size:           8
        .value_kind:     hidden_global_offset_z
      - .offset:         104
        .size:           2
        .value_kind:     hidden_grid_dims
      - .offset:         160
        .size:           4
        .value_kind:     hidden_dynamic_lds_size
    .group_segment_fixed_size: 0
    .kernarg_segment_align: 8
    .kernarg_segment_size: 296
    .language:       OpenCL C
    .language_version:
      - 2
      - 0
    .max_flat_workgroup_size: 1024
    .name:           _Z13TaskQueue_gpuPK6task_tPiS2_iii
    .private_segment_fixed_size: 0
    .sgpr_count:     17
    .sgpr_spill_count: 0
    .symbol:         _Z13TaskQueue_gpuPK6task_tPiS2_iii.kd
    .uniform_work_group_size: 1
    .uses_dynamic_stack: false
    .vgpr_count:     6
    .vgpr_spill_count: 0
    .wavefront_size: 32
amdhsa.target:   amdgcn-amd-amdhsa--gfx1250
amdhsa.version:
  - 1
  - 2
...

	.end_amdgpu_metadata
